;; amdgpu-corpus repo=zjin-lcf/HeCBench kind=compiled arch=gfx906 opt=O3
	.amdgcn_target "amdgcn-amd-amdhsa--gfx906"
	.amdhsa_code_object_version 6
	.section	.text._Z9minkowskiILi512ELi1024ELi2048EEvPKfS1_Pfff,"axG",@progbits,_Z9minkowskiILi512ELi1024ELi2048EEvPKfS1_Pfff,comdat
	.protected	_Z9minkowskiILi512ELi1024ELi2048EEvPKfS1_Pfff ; -- Begin function _Z9minkowskiILi512ELi1024ELi2048EEvPKfS1_Pfff
	.globl	_Z9minkowskiILi512ELi1024ELi2048EEvPKfS1_Pfff
	.p2align	8
	.type	_Z9minkowskiILi512ELi1024ELi2048EEvPKfS1_Pfff,@function
_Z9minkowskiILi512ELi1024ELi2048EEvPKfS1_Pfff: ; @_Z9minkowskiILi512ELi1024ELi2048EEvPKfS1_Pfff
; %bb.0:
	s_load_dword s0, s[4:5], 0x2c
	s_waitcnt lgkmcnt(0)
	s_lshr_b32 s1, s0, 16
	s_and_b32 s0, s0, 0xffff
	s_mul_i32 s6, s6, s0
	v_add_u32_e32 v2, s6, v0
	s_mul_i32 s7, s7, s1
	s_movk_i32 s0, 0x800
	v_add_u32_e32 v3, s7, v1
	v_cmp_gt_i32_e32 vcc, s0, v2
	s_movk_i32 s0, 0x200
	v_cmp_gt_i32_e64 s[0:1], s0, v3
	s_and_b64 s[0:1], vcc, s[0:1]
	s_and_saveexec_b64 s[2:3], s[0:1]
	s_cbranch_execz .LBB0_4
; %bb.1:
	s_load_dwordx8 s[8:15], s[4:5], 0x0
	v_lshlrev_b32_e32 v0, 10, v3
	v_ashrrev_i32_e32 v1, 31, v0
	v_lshlrev_b64 v[0:1], 2, v[0:1]
	v_mov_b32_e32 v9, 0x3ecccdef
	s_waitcnt lgkmcnt(0)
	v_mov_b32_e32 v4, s9
	v_add_co_u32_e32 v5, vcc, s8, v0
	v_addc_co_u32_e32 v6, vcc, v4, v1, vcc
	v_mov_b32_e32 v4, 0
	s_mov_b64 s[8:9], 0
	v_mov_b32_e32 v7, s11
	v_mov_b32_e32 v8, s14
	s_mov_b32 s11, 0x3f2aaaab
	s_mov_b32 s14, 0x3f317218
	s_movk_i32 s16, 0x204
	s_mov_b32 s17, 0x7f800000
	s_mov_b32 s18, 0x42b17218
	v_mov_b32_e32 v10, 0x37000000
	s_mov_b32 s19, 0x3fb8aa3b
	s_mov_b32 s20, 0xc2ce8ed0
	v_mov_b32_e32 v11, 0x7f800000
	v_mov_b32_e32 v12, 0x7fc00000
	;; [unrolled: 1-line block ×3, first 2 shown]
.LBB0_2:                                ; =>This Inner Loop Header: Depth=1
	v_ashrrev_i32_e32 v1, 31, v0
	v_mov_b32_e32 v14, s9
	v_add_co_u32_e32 v13, vcc, s8, v5
	v_lshlrev_b64 v[15:16], 2, v[0:1]
	v_addc_co_u32_e32 v14, vcc, v6, v14, vcc
	global_load_dword v1, v[13:14], off
	v_add_co_u32_e32 v13, vcc, s10, v15
	v_addc_co_u32_e32 v14, vcc, v7, v16, vcc
	global_load_dword v13, v[13:14], off
	v_add_u32_e32 v0, 0x800, v0
	s_waitcnt vmcnt(0)
	v_sub_f32_e32 v13, v1, v13
	v_cmp_neq_f32_e64 vcc, |v13|, 1.0
	v_cndmask_b32_e32 v1, 1.0, v8, vcc
	v_cmp_neq_f32_e32 vcc, 0, v1
	v_cndmask_b32_e64 v13, 1.0, |v13|, vcc
	v_frexp_mant_f32_e32 v16, v13
	v_cmp_gt_f32_e32 vcc, s11, v16
	v_cndmask_b32_e64 v17, 1.0, 2.0, vcc
	v_mul_f32_e32 v16, v16, v17
	v_add_f32_e32 v18, 1.0, v16
	v_cvt_f64_f32_e32 v[14:15], v13
	v_rcp_f32_e32 v19, v18
	v_add_f32_e32 v17, -1.0, v16
	v_add_f32_e32 v20, -1.0, v18
	v_frexp_exp_i32_f64_e32 v14, v[14:15]
	v_sub_f32_e32 v15, v16, v20
	v_mul_f32_e32 v20, v17, v19
	v_mul_f32_e32 v16, v18, v20
	v_fma_f32 v18, v20, v18, -v16
	v_fmac_f32_e32 v18, v20, v15
	v_add_f32_e32 v15, v16, v18
	v_sub_f32_e32 v16, v15, v16
	v_sub_f32_e32 v16, v16, v18
	;; [unrolled: 1-line block ×5, first 2 shown]
	v_add_f32_e32 v15, v16, v15
	v_add_f32_e32 v15, v18, v15
	v_mul_f32_e32 v15, v19, v15
	v_add_f32_e32 v16, v20, v15
	v_sub_f32_e32 v18, v16, v20
	v_mul_f32_e32 v19, v16, v16
	v_sub_f32_e32 v15, v15, v18
	v_fma_f32 v18, v16, v16, -v19
	v_add_f32_e32 v20, v15, v15
	v_fmac_f32_e32 v18, v16, v20
	v_mov_b32_e32 v17, 0x3e91f4c4
	v_add_f32_e32 v20, v19, v18
	v_fmac_f32_e32 v17, 0x3e76c4e1, v20
	v_sub_f32_e32 v19, v20, v19
	v_sub_f32_e32 v18, v18, v19
	v_mul_f32_e32 v19, v16, v20
	v_fma_f32 v17, v20, v17, v9
	v_fma_f32 v21, v20, v16, -v19
	v_mul_f32_e32 v22, v20, v17
	v_fmac_f32_e32 v21, v20, v15
	v_fma_f32 v20, v20, v17, -v22
	v_fmac_f32_e32 v20, v18, v17
	v_add_f32_e32 v17, v22, v20
	v_fmac_f32_e32 v21, v18, v16
	v_sub_f32_e32 v18, v17, v22
	v_sub_f32_e32 v18, v20, v18
	v_add_f32_e32 v20, 0x3f2aaaaa, v17
	v_add_f32_e32 v22, 0xbf2aaaaa, v20
	v_sub_f32_e32 v17, v17, v22
	v_add_f32_e32 v18, 0x31739010, v18
	v_add_f32_e32 v17, v18, v17
	;; [unrolled: 1-line block ×3, first 2 shown]
	v_sub_f32_e32 v20, v20, v18
	v_add_f32_e32 v17, v17, v20
	v_add_f32_e32 v20, v19, v21
	v_subbrev_co_u32_e32 v14, vcc, 0, v14, vcc
	v_mul_f32_e32 v22, v20, v18
	v_cvt_f32_i32_e32 v14, v14
	v_fma_f32 v23, v20, v18, -v22
	v_fmac_f32_e32 v23, v20, v17
	v_sub_f32_e32 v17, v20, v19
	v_sub_f32_e32 v17, v21, v17
	v_fmac_f32_e32 v23, v17, v18
	v_mul_f32_e32 v17, 0x3f317218, v14
	v_fma_f32 v18, v14, s14, -v17
	v_fmac_f32_e32 v18, 0xb102e308, v14
	v_ldexp_f32 v14, v16, 1
	v_add_f32_e32 v16, v17, v18
	v_sub_f32_e32 v17, v16, v17
	v_sub_f32_e32 v17, v18, v17
	v_add_f32_e32 v18, v22, v23
	v_sub_f32_e32 v19, v18, v22
	v_add_f32_e32 v20, v14, v18
	v_sub_f32_e32 v19, v23, v19
	v_sub_f32_e32 v14, v20, v14
	v_ldexp_f32 v15, v15, 1
	v_sub_f32_e32 v14, v18, v14
	v_add_f32_e32 v15, v15, v19
	v_add_f32_e32 v14, v15, v14
	;; [unrolled: 1-line block ×3, first 2 shown]
	v_sub_f32_e32 v19, v15, v20
	v_add_f32_e32 v20, v16, v15
	v_sub_f32_e32 v14, v14, v19
	v_sub_f32_e32 v19, v20, v16
	;; [unrolled: 1-line block ×5, first 2 shown]
	v_add_f32_e32 v19, v17, v14
	v_add_f32_e32 v15, v15, v16
	v_sub_f32_e32 v16, v19, v17
	v_sub_f32_e32 v14, v14, v16
	;; [unrolled: 1-line block ×4, first 2 shown]
	v_add_f32_e32 v15, v19, v15
	v_add_f32_e32 v14, v14, v16
	;; [unrolled: 1-line block ×3, first 2 shown]
	v_sub_f32_e32 v19, v16, v20
	v_sub_f32_e32 v15, v15, v19
	v_add_f32_e32 v14, v14, v15
	v_add_f32_e32 v15, v16, v14
	v_cmp_neq_f32_e64 s[22:23], v1, |v1|
	v_cmp_gt_f32_e64 s[2:3], 1.0, v13
	v_sub_f32_e32 v16, v15, v16
	v_mul_f32_e32 v19, v1, v15
	s_xor_b64 s[2:3], s[22:23], s[2:3]
	v_sub_f32_e32 v14, v14, v16
	v_fma_f32 v15, v1, v15, -v19
	v_cndmask_b32_e64 v18, v11, 0, s[2:3]
	v_cmp_neq_f32_e32 vcc, 1.0, v13
	v_fmac_f32_e32 v15, v1, v14
	v_cndmask_b32_e32 v18, 1.0, v18, vcc
	v_add_f32_e32 v14, v19, v15
	v_cmp_class_f32_e64 vcc, v19, s16
	v_sub_f32_e32 v16, v14, v19
	v_cndmask_b32_e32 v14, v14, v19, vcc
	v_cmp_eq_f32_e32 vcc, s18, v14
	v_sub_f32_e32 v15, v15, v16
	v_cndmask_b32_e32 v16, 0, v10, vcc
	v_cmp_neq_f32_e64 vcc, |v14|, s17
	v_cndmask_b32_e32 v15, 0, v15, vcc
	v_sub_f32_e32 v14, v14, v16
	v_add_f32_e32 v15, v16, v15
	v_mul_f32_e32 v16, 0x3fb8aa3b, v14
	v_fma_f32 v19, v14, s19, -v16
	v_rndne_f32_e32 v20, v16
	v_fmac_f32_e32 v19, 0x32a5705f, v14
	v_sub_f32_e32 v16, v16, v20
	v_add_f32_e32 v16, v16, v19
	v_cvt_i32_f32_e32 v20, v20
	v_exp_f32_e32 v16, v16
	v_cmp_ngt_f32_e32 vcc, s20, v14
	v_cmp_gt_f32_e64 s[0:1], 0, v1
	v_cmp_eq_f32_e64 s[6:7], 0, v13
	v_ldexp_f32 v16, v16, v20
	v_cndmask_b32_e32 v16, 0, v16, vcc
	v_cmp_nlt_f32_e32 vcc, s18, v14
	v_cndmask_b32_e32 v14, v11, v16, vcc
	s_xor_b64 s[0:1], s[0:1], s[6:7]
	v_fma_f32 v15, v14, v15, v14
	v_cmp_class_f32_e64 vcc, v14, s16
	v_cmp_eq_f32_e64 s[4:5], s17, v13
	v_cndmask_b32_e64 v17, v11, 0, s[0:1]
	v_cndmask_b32_e32 v14, v15, v14, vcc
	v_cmp_class_f32_e64 s[0:1], v1, s16
	v_cndmask_b32_e64 v14, |v14|, v18, s[0:1]
	s_or_b64 vcc, s[6:7], s[4:5]
	v_cndmask_b32_e32 v14, v14, v17, vcc
	s_add_u32 s8, s8, 4
	v_cmp_o_f32_e32 vcc, v13, v1
	v_cndmask_b32_e32 v1, v12, v14, vcc
	s_addc_u32 s9, s9, 0
	s_cmpk_eq_i32 s8, 0x1000
	v_add_f32_e32 v4, v4, v1
	s_cbranch_scc0 .LBB0_2
; %bb.3:
	v_mov_b32_e32 v0, s15
	v_cmp_neq_f32_e32 vcc, 1.0, v4
	v_cndmask_b32_e32 v0, 1.0, v0, vcc
	v_cmp_neq_f32_e32 vcc, 0, v0
	v_cndmask_b32_e32 v1, 1.0, v4, vcc
	v_frexp_mant_f32_e64 v4, |v1|
	s_mov_b32 s0, 0x3f2aaaab
	v_cmp_gt_f32_e32 vcc, s0, v4
	v_cndmask_b32_e64 v5, 1.0, 2.0, vcc
	v_mul_f32_e32 v4, v4, v5
	v_add_f32_e32 v5, 1.0, v4
	v_rcp_f32_e32 v6, v5
	v_add_f32_e32 v7, -1.0, v4
	v_add_f32_e32 v8, -1.0, v5
	v_sub_f32_e32 v4, v4, v8
	v_mul_f32_e32 v8, v7, v6
	v_mul_f32_e32 v9, v5, v8
	v_fma_f32 v5, v8, v5, -v9
	v_fmac_f32_e32 v5, v8, v4
	v_add_f32_e32 v4, v9, v5
	v_sub_f32_e32 v10, v7, v4
	v_sub_f32_e32 v9, v4, v9
	;; [unrolled: 1-line block ×5, first 2 shown]
	v_add_f32_e32 v4, v5, v4
	v_add_f32_e32 v4, v10, v4
	v_mul_f32_e32 v4, v6, v4
	v_add_f32_e32 v6, v8, v4
	v_sub_f32_e32 v5, v6, v8
	v_sub_f32_e32 v7, v4, v5
	v_mul_f32_e32 v4, v6, v6
	v_fma_f32 v5, v6, v6, -v4
	v_add_f32_e32 v8, v7, v7
	v_fmac_f32_e32 v5, v6, v8
	v_add_f32_e32 v8, v4, v5
	v_mov_b32_e32 v9, 0x3e91f4c4
	v_sub_f32_e32 v4, v8, v4
	v_fmac_f32_e32 v9, 0x3e76c4e1, v8
	v_mov_b32_e32 v10, 0x3ecccdef
	v_sub_f32_e32 v4, v5, v4
	v_mul_f32_e32 v5, v6, v8
	v_fmac_f32_e32 v10, v8, v9
	v_fma_f32 v9, v8, v6, -v5
	v_fmac_f32_e32 v9, v8, v7
	v_fmac_f32_e32 v9, v4, v6
	v_add_f32_e32 v11, v5, v9
	v_sub_f32_e32 v5, v11, v5
	v_sub_f32_e32 v9, v9, v5
	v_mul_f32_e32 v5, v8, v10
	v_fma_f32 v8, v8, v10, -v5
	v_fmac_f32_e32 v8, v4, v10
	v_add_f32_e32 v10, v5, v8
	v_sub_f32_e32 v4, v10, v5
	v_sub_f32_e32 v8, v8, v4
	v_cvt_f64_f32_e64 v[4:5], |v1|
	v_add_f32_e32 v12, 0x3f2aaaaa, v10
	v_add_f32_e32 v13, 0xbf2aaaaa, v12
	;; [unrolled: 1-line block ×3, first 2 shown]
	v_frexp_exp_i32_f64_e32 v4, v[4:5]
	v_sub_f32_e32 v10, v10, v13
	v_add_f32_e32 v5, v8, v10
	v_add_f32_e32 v8, v12, v5
	v_sub_f32_e32 v10, v12, v8
	v_add_f32_e32 v5, v5, v10
	v_mul_f32_e32 v10, v11, v8
	v_fma_f32 v12, v11, v8, -v10
	v_subbrev_co_u32_e32 v4, vcc, 0, v4, vcc
	v_cvt_f32_i32_e32 v4, v4
	v_fmac_f32_e32 v12, v11, v5
	s_mov_b32 s0, 0x3f317218
	v_fmac_f32_e32 v12, v9, v8
	v_mul_f32_e32 v5, 0x3f317218, v4
	v_fma_f32 v8, v4, s0, -v5
	v_fmac_f32_e32 v8, 0xb102e308, v4
	v_ldexp_f32 v4, v7, 1
	v_add_f32_e32 v7, v5, v8
	v_sub_f32_e32 v5, v7, v5
	v_ldexp_f32 v6, v6, 1
	v_sub_f32_e32 v5, v8, v5
	v_add_f32_e32 v8, v10, v12
	v_sub_f32_e32 v9, v8, v10
	v_add_f32_e32 v10, v6, v8
	v_sub_f32_e32 v9, v12, v9
	v_sub_f32_e32 v6, v10, v6
	;; [unrolled: 1-line block ×3, first 2 shown]
	v_add_f32_e32 v4, v4, v9
	v_add_f32_e32 v4, v4, v6
	;; [unrolled: 1-line block ×3, first 2 shown]
	v_sub_f32_e32 v8, v6, v10
	v_sub_f32_e32 v4, v4, v8
	v_add_f32_e32 v8, v7, v6
	v_sub_f32_e32 v9, v8, v7
	v_sub_f32_e32 v10, v8, v9
	;; [unrolled: 1-line block ×4, first 2 shown]
	v_add_f32_e32 v6, v6, v7
	v_add_f32_e32 v7, v5, v4
	v_sub_f32_e32 v9, v7, v5
	v_sub_f32_e32 v10, v7, v9
	;; [unrolled: 1-line block ×4, first 2 shown]
	v_add_f32_e32 v4, v4, v5
	v_add_f32_e32 v5, v7, v6
	;; [unrolled: 1-line block ×3, first 2 shown]
	v_sub_f32_e32 v7, v6, v8
	v_sub_f32_e32 v5, v5, v7
	v_add_f32_e32 v4, v4, v5
	v_add_f32_e32 v5, v6, v4
	v_sub_f32_e32 v6, v5, v6
	v_sub_f32_e32 v4, v4, v6
	v_mul_f32_e32 v6, v0, v5
	v_fma_f32 v5, v0, v5, -v6
	v_fmac_f32_e32 v5, v0, v4
	s_movk_i32 s6, 0x204
	v_add_f32_e32 v4, v6, v5
	v_cmp_class_f32_e64 vcc, v6, s6
	v_sub_f32_e32 v7, v4, v6
	v_cndmask_b32_e32 v4, v4, v6, vcc
	s_mov_b32 s1, 0x42b17218
	v_mov_b32_e32 v6, 0x37000000
	v_cmp_eq_f32_e32 vcc, s1, v4
	v_cndmask_b32_e32 v6, 0, v6, vcc
	v_sub_f32_e32 v5, v5, v7
	v_sub_f32_e32 v7, v4, v6
	s_mov_b32 s2, 0x3fb8aa3b
	v_mul_f32_e32 v8, 0x3fb8aa3b, v7
	v_fma_f32 v9, v7, s2, -v8
	v_rndne_f32_e32 v10, v8
	v_fmac_f32_e32 v9, 0x32a5705f, v7
	v_sub_f32_e32 v8, v8, v10
	v_add_f32_e32 v8, v8, v9
	v_exp_f32_e32 v8, v8
	v_cvt_i32_f32_e32 v9, v10
	s_mov_b32 s0, 0x7f800000
	v_cmp_neq_f32_e64 vcc, |v4|, s0
	s_mov_b32 s0, 0xc2ce8ed0
	v_cndmask_b32_e32 v4, 0, v5, vcc
	v_ldexp_f32 v5, v8, v9
	v_cmp_ngt_f32_e32 vcc, s0, v7
	v_add_f32_e32 v4, v6, v4
	v_cndmask_b32_e32 v5, 0, v5, vcc
	v_mov_b32_e32 v6, 0x7f800000
	v_cmp_nlt_f32_e32 vcc, s1, v7
	v_cndmask_b32_e32 v5, v6, v5, vcc
	v_fma_f32 v4, v5, v4, v5
	v_cmp_class_f32_e64 vcc, v5, s6
	v_cndmask_b32_e32 v4, v4, v5, vcc
	v_trunc_f32_e32 v5, v0
	v_cmp_eq_f32_e32 vcc, v5, v0
	v_mul_f32_e32 v5, 0.5, v0
	v_trunc_f32_e32 v8, v5
	v_cmp_neq_f32_e64 s[0:1], v8, v5
	s_and_b64 s[0:1], vcc, s[0:1]
	v_cndmask_b32_e64 v5, 1.0, v1, s[0:1]
	s_brev_b32 s7, -2
	v_mov_b32_e32 v7, 0x7fc00000
	v_bfi_b32 v4, s7, v4, v5
	v_cmp_neq_f32_e64 s[2:3], v0, |v0|
	v_cmp_lt_f32_e64 s[4:5], |v1|, 1.0
	v_cndmask_b32_e32 v5, v7, v4, vcc
	v_cmp_gt_f32_e32 vcc, 0, v1
	s_xor_b64 s[2:3], s[2:3], s[4:5]
	v_cndmask_b32_e32 v4, v4, v5, vcc
	v_cndmask_b32_e64 v5, v6, 0, s[2:3]
	v_cmp_neq_f32_e64 vcc, |v1|, 1.0
	v_cndmask_b32_e32 v5, 1.0, v5, vcc
	v_cmp_class_f32_e64 vcc, v0, s6
	v_cndmask_b32_e32 v4, v4, v5, vcc
	v_cmp_eq_f32_e32 vcc, 0, v1
	v_cmp_gt_f32_e64 s[2:3], 0, v0
	s_xor_b64 s[2:3], s[2:3], vcc
	v_cmp_class_f32_e64 s[4:5], v1, s6
	v_cndmask_b32_e64 v5, v6, 0, s[2:3]
	v_cndmask_b32_e64 v6, 0, v1, s[0:1]
	v_bfi_b32 v5, s7, v5, v6
	s_or_b64 vcc, vcc, s[4:5]
	v_cndmask_b32_e32 v4, v4, v5, vcc
	v_cmp_o_f32_e32 vcc, v1, v0
	v_lshl_add_u32 v0, v3, 11, v2
	v_ashrrev_i32_e32 v1, 31, v0
	v_lshlrev_b64 v[0:1], 2, v[0:1]
	v_cndmask_b32_e32 v4, v7, v4, vcc
	v_mov_b32_e32 v2, s13
	v_add_co_u32_e32 v0, vcc, s12, v0
	v_addc_co_u32_e32 v1, vcc, v2, v1, vcc
	global_store_dword v[0:1], v4, off
.LBB0_4:
	s_endpgm
	.section	.rodata,"a",@progbits
	.p2align	6, 0x0
	.amdhsa_kernel _Z9minkowskiILi512ELi1024ELi2048EEvPKfS1_Pfff
		.amdhsa_group_segment_fixed_size 0
		.amdhsa_private_segment_fixed_size 0
		.amdhsa_kernarg_size 288
		.amdhsa_user_sgpr_count 6
		.amdhsa_user_sgpr_private_segment_buffer 1
		.amdhsa_user_sgpr_dispatch_ptr 0
		.amdhsa_user_sgpr_queue_ptr 0
		.amdhsa_user_sgpr_kernarg_segment_ptr 1
		.amdhsa_user_sgpr_dispatch_id 0
		.amdhsa_user_sgpr_flat_scratch_init 0
		.amdhsa_user_sgpr_private_segment_size 0
		.amdhsa_uses_dynamic_stack 0
		.amdhsa_system_sgpr_private_segment_wavefront_offset 0
		.amdhsa_system_sgpr_workgroup_id_x 1
		.amdhsa_system_sgpr_workgroup_id_y 1
		.amdhsa_system_sgpr_workgroup_id_z 0
		.amdhsa_system_sgpr_workgroup_info 0
		.amdhsa_system_vgpr_workitem_id 1
		.amdhsa_next_free_vgpr 24
		.amdhsa_next_free_sgpr 24
		.amdhsa_reserve_vcc 1
		.amdhsa_reserve_flat_scratch 0
		.amdhsa_float_round_mode_32 0
		.amdhsa_float_round_mode_16_64 0
		.amdhsa_float_denorm_mode_32 3
		.amdhsa_float_denorm_mode_16_64 3
		.amdhsa_dx10_clamp 1
		.amdhsa_ieee_mode 1
		.amdhsa_fp16_overflow 0
		.amdhsa_exception_fp_ieee_invalid_op 0
		.amdhsa_exception_fp_denorm_src 0
		.amdhsa_exception_fp_ieee_div_zero 0
		.amdhsa_exception_fp_ieee_overflow 0
		.amdhsa_exception_fp_ieee_underflow 0
		.amdhsa_exception_fp_ieee_inexact 0
		.amdhsa_exception_int_div_zero 0
	.end_amdhsa_kernel
	.section	.text._Z9minkowskiILi512ELi1024ELi2048EEvPKfS1_Pfff,"axG",@progbits,_Z9minkowskiILi512ELi1024ELi2048EEvPKfS1_Pfff,comdat
.Lfunc_end0:
	.size	_Z9minkowskiILi512ELi1024ELi2048EEvPKfS1_Pfff, .Lfunc_end0-_Z9minkowskiILi512ELi1024ELi2048EEvPKfS1_Pfff
                                        ; -- End function
	.set _Z9minkowskiILi512ELi1024ELi2048EEvPKfS1_Pfff.num_vgpr, 24
	.set _Z9minkowskiILi512ELi1024ELi2048EEvPKfS1_Pfff.num_agpr, 0
	.set _Z9minkowskiILi512ELi1024ELi2048EEvPKfS1_Pfff.numbered_sgpr, 24
	.set _Z9minkowskiILi512ELi1024ELi2048EEvPKfS1_Pfff.num_named_barrier, 0
	.set _Z9minkowskiILi512ELi1024ELi2048EEvPKfS1_Pfff.private_seg_size, 0
	.set _Z9minkowskiILi512ELi1024ELi2048EEvPKfS1_Pfff.uses_vcc, 1
	.set _Z9minkowskiILi512ELi1024ELi2048EEvPKfS1_Pfff.uses_flat_scratch, 0
	.set _Z9minkowskiILi512ELi1024ELi2048EEvPKfS1_Pfff.has_dyn_sized_stack, 0
	.set _Z9minkowskiILi512ELi1024ELi2048EEvPKfS1_Pfff.has_recursion, 0
	.set _Z9minkowskiILi512ELi1024ELi2048EEvPKfS1_Pfff.has_indirect_call, 0
	.section	.AMDGPU.csdata,"",@progbits
; Kernel info:
; codeLenInByte = 2028
; TotalNumSgprs: 28
; NumVgprs: 24
; ScratchSize: 0
; MemoryBound: 0
; FloatMode: 240
; IeeeMode: 1
; LDSByteSize: 0 bytes/workgroup (compile time only)
; SGPRBlocks: 3
; VGPRBlocks: 5
; NumSGPRsForWavesPerEU: 28
; NumVGPRsForWavesPerEU: 24
; Occupancy: 10
; WaveLimiterHint : 0
; COMPUTE_PGM_RSRC2:SCRATCH_EN: 0
; COMPUTE_PGM_RSRC2:USER_SGPR: 6
; COMPUTE_PGM_RSRC2:TRAP_HANDLER: 0
; COMPUTE_PGM_RSRC2:TGID_X_EN: 1
; COMPUTE_PGM_RSRC2:TGID_Y_EN: 1
; COMPUTE_PGM_RSRC2:TGID_Z_EN: 0
; COMPUTE_PGM_RSRC2:TIDIG_COMP_CNT: 1
	.section	.AMDGPU.gpr_maximums,"",@progbits
	.set amdgpu.max_num_vgpr, 0
	.set amdgpu.max_num_agpr, 0
	.set amdgpu.max_num_sgpr, 0
	.section	.AMDGPU.csdata,"",@progbits
	.type	__hip_cuid_156782305809d405,@object ; @__hip_cuid_156782305809d405
	.section	.bss,"aw",@nobits
	.globl	__hip_cuid_156782305809d405
__hip_cuid_156782305809d405:
	.byte	0                               ; 0x0
	.size	__hip_cuid_156782305809d405, 1

	.ident	"AMD clang version 22.0.0git (https://github.com/RadeonOpenCompute/llvm-project roc-7.2.4 26084 f58b06dce1f9c15707c5f808fd002e18c2accf7e)"
	.section	".note.GNU-stack","",@progbits
	.addrsig
	.addrsig_sym __hip_cuid_156782305809d405
	.amdgpu_metadata
---
amdhsa.kernels:
  - .args:
      - .actual_access:  read_only
        .address_space:  global
        .offset:         0
        .size:           8
        .value_kind:     global_buffer
      - .actual_access:  read_only
        .address_space:  global
        .offset:         8
        .size:           8
        .value_kind:     global_buffer
      - .actual_access:  write_only
        .address_space:  global
        .offset:         16
        .size:           8
        .value_kind:     global_buffer
      - .offset:         24
        .size:           4
        .value_kind:     by_value
      - .offset:         28
        .size:           4
        .value_kind:     by_value
      - .offset:         32
        .size:           4
        .value_kind:     hidden_block_count_x
      - .offset:         36
        .size:           4
        .value_kind:     hidden_block_count_y
      - .offset:         40
        .size:           4
        .value_kind:     hidden_block_count_z
      - .offset:         44
        .size:           2
        .value_kind:     hidden_group_size_x
      - .offset:         46
        .size:           2
        .value_kind:     hidden_group_size_y
      - .offset:         48
        .size:           2
        .value_kind:     hidden_group_size_z
      - .offset:         50
        .size:           2
        .value_kind:     hidden_remainder_x
      - .offset:         52
        .size:           2
        .value_kind:     hidden_remainder_y
      - .offset:         54
        .size:           2
        .value_kind:     hidden_remainder_z
      - .offset:         72
        .size:           8
        .value_kind:     hidden_global_offset_x
      - .offset:         80
        .size:           8
        .value_kind:     hidden_global_offset_y
      - .offset:         88
        .size:           8
        .value_kind:     hidden_global_offset_z
      - .offset:         96
        .size:           2
        .value_kind:     hidden_grid_dims
    .group_segment_fixed_size: 0
    .kernarg_segment_align: 8
    .kernarg_segment_size: 288
    .language:       OpenCL C
    .language_version:
      - 2
      - 0
    .max_flat_workgroup_size: 1024
    .name:           _Z9minkowskiILi512ELi1024ELi2048EEvPKfS1_Pfff
    .private_segment_fixed_size: 0
    .sgpr_count:     28
    .sgpr_spill_count: 0
    .symbol:         _Z9minkowskiILi512ELi1024ELi2048EEvPKfS1_Pfff.kd
    .uniform_work_group_size: 1
    .uses_dynamic_stack: false
    .vgpr_count:     24
    .vgpr_spill_count: 0
    .wavefront_size: 64
amdhsa.target:   amdgcn-amd-amdhsa--gfx906
amdhsa.version:
  - 1
  - 2
...

	.end_amdgpu_metadata
